;; amdgpu-corpus repo=ROCm/rocFFT kind=compiled arch=gfx906 opt=O3
	.text
	.amdgcn_target "amdgcn-amd-amdhsa--gfx906"
	.amdhsa_code_object_version 6
	.protected	fft_rtc_fwd_len396_factors_11_9_4_wgs_44_tpt_44_sp_op_CI_CI_sbrr_dirReg ; -- Begin function fft_rtc_fwd_len396_factors_11_9_4_wgs_44_tpt_44_sp_op_CI_CI_sbrr_dirReg
	.globl	fft_rtc_fwd_len396_factors_11_9_4_wgs_44_tpt_44_sp_op_CI_CI_sbrr_dirReg
	.p2align	8
	.type	fft_rtc_fwd_len396_factors_11_9_4_wgs_44_tpt_44_sp_op_CI_CI_sbrr_dirReg,@function
fft_rtc_fwd_len396_factors_11_9_4_wgs_44_tpt_44_sp_op_CI_CI_sbrr_dirReg: ; @fft_rtc_fwd_len396_factors_11_9_4_wgs_44_tpt_44_sp_op_CI_CI_sbrr_dirReg
; %bb.0:
	s_load_dwordx4 s[16:19], s[4:5], 0x18
	s_load_dwordx4 s[12:15], s[4:5], 0x0
	;; [unrolled: 1-line block ×3, first 2 shown]
	v_mul_u32_u24_e32 v1, 0x5d2, v0
	v_add_u32_sdwa v5, s6, v1 dst_sel:DWORD dst_unused:UNUSED_PAD src0_sel:DWORD src1_sel:WORD_1
	s_waitcnt lgkmcnt(0)
	s_load_dwordx2 s[20:21], s[16:17], 0x0
	s_load_dwordx2 s[2:3], s[18:19], 0x0
	v_cmp_lt_u64_e64 s[0:1], s[14:15], 2
	v_mov_b32_e32 v3, 0
	v_mov_b32_e32 v1, 0
	;; [unrolled: 1-line block ×3, first 2 shown]
	s_and_b64 vcc, exec, s[0:1]
	v_mov_b32_e32 v2, 0
	s_cbranch_vccnz .LBB0_8
; %bb.1:
	s_load_dwordx2 s[0:1], s[4:5], 0x10
	s_add_u32 s6, s18, 8
	s_addc_u32 s7, s19, 0
	s_add_u32 s22, s16, 8
	v_mov_b32_e32 v1, 0
	s_addc_u32 s23, s17, 0
	v_mov_b32_e32 v2, 0
	s_waitcnt lgkmcnt(0)
	s_add_u32 s24, s0, 8
	v_mov_b32_e32 v25, v2
	s_addc_u32 s25, s1, 0
	s_mov_b64 s[26:27], 1
	v_mov_b32_e32 v24, v1
.LBB0_2:                                ; =>This Inner Loop Header: Depth=1
	s_load_dwordx2 s[28:29], s[24:25], 0x0
                                        ; implicit-def: $vgpr26_vgpr27
	s_waitcnt lgkmcnt(0)
	v_or_b32_e32 v4, s29, v6
	v_cmp_ne_u64_e32 vcc, 0, v[3:4]
	s_and_saveexec_b64 s[0:1], vcc
	s_xor_b64 s[30:31], exec, s[0:1]
	s_cbranch_execz .LBB0_4
; %bb.3:                                ;   in Loop: Header=BB0_2 Depth=1
	v_cvt_f32_u32_e32 v4, s28
	v_cvt_f32_u32_e32 v7, s29
	s_sub_u32 s0, 0, s28
	s_subb_u32 s1, 0, s29
	v_mac_f32_e32 v4, 0x4f800000, v7
	v_rcp_f32_e32 v4, v4
	v_mul_f32_e32 v4, 0x5f7ffffc, v4
	v_mul_f32_e32 v7, 0x2f800000, v4
	v_trunc_f32_e32 v7, v7
	v_mac_f32_e32 v4, 0xcf800000, v7
	v_cvt_u32_f32_e32 v7, v7
	v_cvt_u32_f32_e32 v4, v4
	v_mul_lo_u32 v8, s0, v7
	v_mul_hi_u32 v9, s0, v4
	v_mul_lo_u32 v11, s1, v4
	v_mul_lo_u32 v10, s0, v4
	v_add_u32_e32 v8, v9, v8
	v_add_u32_e32 v8, v8, v11
	v_mul_hi_u32 v9, v4, v10
	v_mul_lo_u32 v11, v4, v8
	v_mul_hi_u32 v13, v4, v8
	v_mul_hi_u32 v12, v7, v10
	v_mul_lo_u32 v10, v7, v10
	v_mul_hi_u32 v14, v7, v8
	v_add_co_u32_e32 v9, vcc, v9, v11
	v_addc_co_u32_e32 v11, vcc, 0, v13, vcc
	v_mul_lo_u32 v8, v7, v8
	v_add_co_u32_e32 v9, vcc, v9, v10
	v_addc_co_u32_e32 v9, vcc, v11, v12, vcc
	v_addc_co_u32_e32 v10, vcc, 0, v14, vcc
	v_add_co_u32_e32 v8, vcc, v9, v8
	v_addc_co_u32_e32 v9, vcc, 0, v10, vcc
	v_add_co_u32_e32 v4, vcc, v4, v8
	v_addc_co_u32_e32 v7, vcc, v7, v9, vcc
	v_mul_lo_u32 v8, s0, v7
	v_mul_hi_u32 v9, s0, v4
	v_mul_lo_u32 v10, s1, v4
	v_mul_lo_u32 v11, s0, v4
	v_add_u32_e32 v8, v9, v8
	v_add_u32_e32 v8, v8, v10
	v_mul_lo_u32 v12, v4, v8
	v_mul_hi_u32 v13, v4, v11
	v_mul_hi_u32 v14, v4, v8
	;; [unrolled: 1-line block ×3, first 2 shown]
	v_mul_lo_u32 v11, v7, v11
	v_mul_hi_u32 v9, v7, v8
	v_add_co_u32_e32 v12, vcc, v13, v12
	v_addc_co_u32_e32 v13, vcc, 0, v14, vcc
	v_mul_lo_u32 v8, v7, v8
	v_add_co_u32_e32 v11, vcc, v12, v11
	v_addc_co_u32_e32 v10, vcc, v13, v10, vcc
	v_addc_co_u32_e32 v9, vcc, 0, v9, vcc
	v_add_co_u32_e32 v8, vcc, v10, v8
	v_addc_co_u32_e32 v9, vcc, 0, v9, vcc
	v_add_co_u32_e32 v4, vcc, v4, v8
	v_addc_co_u32_e32 v9, vcc, v7, v9, vcc
	v_mad_u64_u32 v[7:8], s[0:1], v5, v9, 0
	v_mul_hi_u32 v10, v5, v4
	v_add_co_u32_e32 v11, vcc, v10, v7
	v_addc_co_u32_e32 v12, vcc, 0, v8, vcc
	v_mad_u64_u32 v[7:8], s[0:1], v6, v4, 0
	v_mad_u64_u32 v[9:10], s[0:1], v6, v9, 0
	v_add_co_u32_e32 v4, vcc, v11, v7
	v_addc_co_u32_e32 v4, vcc, v12, v8, vcc
	v_addc_co_u32_e32 v7, vcc, 0, v10, vcc
	v_add_co_u32_e32 v4, vcc, v4, v9
	v_addc_co_u32_e32 v9, vcc, 0, v7, vcc
	v_mul_lo_u32 v10, s29, v4
	v_mul_lo_u32 v11, s28, v9
	v_mad_u64_u32 v[7:8], s[0:1], s28, v4, 0
	v_add3_u32 v8, v8, v11, v10
	v_sub_u32_e32 v10, v6, v8
	v_mov_b32_e32 v11, s29
	v_sub_co_u32_e32 v7, vcc, v5, v7
	v_subb_co_u32_e64 v10, s[0:1], v10, v11, vcc
	v_subrev_co_u32_e64 v11, s[0:1], s28, v7
	v_subbrev_co_u32_e64 v10, s[0:1], 0, v10, s[0:1]
	v_cmp_le_u32_e64 s[0:1], s29, v10
	v_cndmask_b32_e64 v12, 0, -1, s[0:1]
	v_cmp_le_u32_e64 s[0:1], s28, v11
	v_cndmask_b32_e64 v11, 0, -1, s[0:1]
	v_cmp_eq_u32_e64 s[0:1], s29, v10
	v_cndmask_b32_e64 v10, v12, v11, s[0:1]
	v_add_co_u32_e64 v11, s[0:1], 2, v4
	v_addc_co_u32_e64 v12, s[0:1], 0, v9, s[0:1]
	v_add_co_u32_e64 v13, s[0:1], 1, v4
	v_addc_co_u32_e64 v14, s[0:1], 0, v9, s[0:1]
	v_subb_co_u32_e32 v8, vcc, v6, v8, vcc
	v_cmp_ne_u32_e64 s[0:1], 0, v10
	v_cmp_le_u32_e32 vcc, s29, v8
	v_cndmask_b32_e64 v10, v14, v12, s[0:1]
	v_cndmask_b32_e64 v12, 0, -1, vcc
	v_cmp_le_u32_e32 vcc, s28, v7
	v_cndmask_b32_e64 v7, 0, -1, vcc
	v_cmp_eq_u32_e32 vcc, s29, v8
	v_cndmask_b32_e32 v7, v12, v7, vcc
	v_cmp_ne_u32_e32 vcc, 0, v7
	v_cndmask_b32_e64 v7, v13, v11, s[0:1]
	v_cndmask_b32_e32 v27, v9, v10, vcc
	v_cndmask_b32_e32 v26, v4, v7, vcc
.LBB0_4:                                ;   in Loop: Header=BB0_2 Depth=1
	s_andn2_saveexec_b64 s[0:1], s[30:31]
	s_cbranch_execz .LBB0_6
; %bb.5:                                ;   in Loop: Header=BB0_2 Depth=1
	v_cvt_f32_u32_e32 v4, s28
	s_sub_i32 s30, 0, s28
	v_mov_b32_e32 v27, v3
	v_rcp_iflag_f32_e32 v4, v4
	v_mul_f32_e32 v4, 0x4f7ffffe, v4
	v_cvt_u32_f32_e32 v4, v4
	v_mul_lo_u32 v7, s30, v4
	v_mul_hi_u32 v7, v4, v7
	v_add_u32_e32 v4, v4, v7
	v_mul_hi_u32 v4, v5, v4
	v_mul_lo_u32 v7, v4, s28
	v_add_u32_e32 v8, 1, v4
	v_sub_u32_e32 v7, v5, v7
	v_subrev_u32_e32 v9, s28, v7
	v_cmp_le_u32_e32 vcc, s28, v7
	v_cndmask_b32_e32 v7, v7, v9, vcc
	v_cndmask_b32_e32 v4, v4, v8, vcc
	v_add_u32_e32 v8, 1, v4
	v_cmp_le_u32_e32 vcc, s28, v7
	v_cndmask_b32_e32 v26, v4, v8, vcc
.LBB0_6:                                ;   in Loop: Header=BB0_2 Depth=1
	s_or_b64 exec, exec, s[0:1]
	v_mul_lo_u32 v4, v27, s28
	v_mul_lo_u32 v9, v26, s29
	v_mad_u64_u32 v[7:8], s[0:1], v26, s28, 0
	s_load_dwordx2 s[0:1], s[22:23], 0x0
	s_load_dwordx2 s[28:29], s[6:7], 0x0
	v_add3_u32 v4, v8, v9, v4
	v_sub_co_u32_e32 v5, vcc, v5, v7
	v_subb_co_u32_e32 v4, vcc, v6, v4, vcc
	s_waitcnt lgkmcnt(0)
	v_mul_lo_u32 v6, s0, v4
	v_mul_lo_u32 v7, s1, v5
	v_mad_u64_u32 v[1:2], s[0:1], s0, v5, v[1:2]
	v_mul_lo_u32 v4, s28, v4
	v_mul_lo_u32 v8, s29, v5
	v_mad_u64_u32 v[24:25], s[0:1], s28, v5, v[24:25]
	s_add_u32 s26, s26, 1
	s_addc_u32 s27, s27, 0
	s_add_u32 s6, s6, 8
	v_add3_u32 v25, v8, v25, v4
	s_addc_u32 s7, s7, 0
	v_mov_b32_e32 v4, s14
	s_add_u32 s22, s22, 8
	v_mov_b32_e32 v5, s15
	s_addc_u32 s23, s23, 0
	v_cmp_ge_u64_e32 vcc, s[26:27], v[4:5]
	s_add_u32 s24, s24, 8
	v_add3_u32 v2, v7, v2, v6
	s_addc_u32 s25, s25, 0
	s_cbranch_vccnz .LBB0_9
; %bb.7:                                ;   in Loop: Header=BB0_2 Depth=1
	v_mov_b32_e32 v5, v26
	v_mov_b32_e32 v6, v27
	s_branch .LBB0_2
.LBB0_8:
	v_mov_b32_e32 v25, v2
	v_mov_b32_e32 v27, v6
	;; [unrolled: 1-line block ×4, first 2 shown]
.LBB0_9:
	s_load_dwordx2 s[0:1], s[4:5], 0x28
	s_lshl_b64 s[14:15], s[14:15], 3
	s_add_u32 s4, s18, s14
	s_addc_u32 s5, s19, s15
                                        ; implicit-def: $vgpr30
	s_waitcnt lgkmcnt(0)
	v_cmp_gt_u64_e32 vcc, s[0:1], v[26:27]
	v_cmp_le_u64_e64 s[0:1], s[0:1], v[26:27]
	s_and_saveexec_b64 s[6:7], s[0:1]
	s_xor_b64 s[0:1], exec, s[6:7]
; %bb.10:
	s_mov_b32 s6, 0x5d1745e
	v_mul_hi_u32 v1, v0, s6
	v_mul_u32_u24_e32 v1, 44, v1
	v_sub_u32_e32 v30, v0, v1
                                        ; implicit-def: $vgpr0
                                        ; implicit-def: $vgpr1_vgpr2
; %bb.11:
	s_andn2_saveexec_b64 s[6:7], s[0:1]
	s_cbranch_execz .LBB0_13
; %bb.12:
	s_add_u32 s0, s16, s14
	s_mov_b32 s14, 0x5d1745e
	v_mul_hi_u32 v3, v0, s14
	s_addc_u32 s1, s17, s15
	s_load_dwordx2 s[0:1], s[0:1], 0x0
	v_mul_u32_u24_e32 v3, 44, v3
	v_sub_u32_e32 v30, v0, v3
	v_mad_u64_u32 v[3:4], s[14:15], s20, v30, 0
	s_waitcnt lgkmcnt(0)
	v_mul_lo_u32 v9, s1, v26
	v_mul_lo_u32 v10, s0, v27
	v_mad_u64_u32 v[5:6], s[0:1], s0, v26, 0
	v_mov_b32_e32 v0, v4
	v_mad_u64_u32 v[7:8], s[0:1], s21, v30, v[0:1]
	v_add3_u32 v6, v6, v10, v9
	v_lshlrev_b64 v[5:6], 3, v[5:6]
	v_mov_b32_e32 v4, v7
	v_mov_b32_e32 v0, s9
	v_add_co_u32_e64 v7, s[0:1], s8, v5
	v_add_u32_e32 v9, 44, v30
	v_addc_co_u32_e64 v8, s[0:1], v0, v6, s[0:1]
	v_mad_u64_u32 v[5:6], s[0:1], s20, v9, 0
	v_lshlrev_b64 v[0:1], 3, v[1:2]
	v_add_u32_e32 v10, 0x84, v30
	v_add_co_u32_e64 v20, s[0:1], v7, v0
	v_mov_b32_e32 v2, v6
	v_addc_co_u32_e64 v21, s[0:1], v8, v1, s[0:1]
	v_lshlrev_b64 v[0:1], 3, v[3:4]
	v_mad_u64_u32 v[2:3], s[0:1], s21, v9, v[2:3]
	v_add_co_u32_e64 v0, s[0:1], v20, v0
	v_mov_b32_e32 v6, v2
	v_lshlrev_b64 v[2:3], 3, v[5:6]
	v_addc_co_u32_e64 v1, s[0:1], v21, v1, s[0:1]
	v_add_co_u32_e64 v2, s[0:1], v20, v2
	v_add_u32_e32 v8, 0x58, v30
	v_addc_co_u32_e64 v3, s[0:1], v21, v3, s[0:1]
	v_mad_u64_u32 v[4:5], s[0:1], s20, v8, 0
	v_mad_u64_u32 v[6:7], s[0:1], s20, v10, 0
	v_add_u32_e32 v12, 0xb0, v30
	v_add_u32_e32 v22, 0xdc, v30
	v_mad_u64_u32 v[8:9], s[0:1], s21, v8, v[5:6]
	v_mov_b32_e32 v5, v7
	v_mad_u64_u32 v[9:10], s[0:1], s21, v10, v[5:6]
	v_mov_b32_e32 v5, v8
	v_mad_u64_u32 v[10:11], s[0:1], s20, v12, 0
	v_lshlrev_b64 v[4:5], 3, v[4:5]
	v_mov_b32_e32 v7, v9
	v_lshlrev_b64 v[6:7], 3, v[6:7]
	v_add_co_u32_e64 v4, s[0:1], v20, v4
	v_addc_co_u32_e64 v5, s[0:1], v21, v5, s[0:1]
	v_add_co_u32_e64 v6, s[0:1], v20, v6
	v_mov_b32_e32 v8, v11
	v_addc_co_u32_e64 v7, s[0:1], v21, v7, s[0:1]
	v_mad_u64_u32 v[8:9], s[0:1], s21, v12, v[8:9]
	v_add_u32_e32 v9, 0x108, v30
	global_load_dwordx2 v[12:13], v[0:1], off
	global_load_dwordx2 v[14:15], v[2:3], off
	;; [unrolled: 1-line block ×4, first 2 shown]
	v_mad_u64_u32 v[0:1], s[0:1], s20, v22, 0
	v_mad_u64_u32 v[2:3], s[0:1], s20, v9, 0
	v_mov_b32_e32 v11, v8
	v_mad_u64_u32 v[4:5], s[0:1], s21, v22, v[1:2]
	v_mov_b32_e32 v1, v3
	;; [unrolled: 2-line block ×3, first 2 shown]
	v_lshlrev_b64 v[3:4], 3, v[10:11]
	v_add_u32_e32 v10, 0x134, v30
	v_add_co_u32_e64 v6, s[0:1], v20, v3
	v_addc_co_u32_e64 v7, s[0:1], v21, v4, s[0:1]
	v_mad_u64_u32 v[8:9], s[0:1], s20, v10, 0
	v_lshlrev_b64 v[0:1], 3, v[0:1]
	v_mov_b32_e32 v3, v5
	v_add_co_u32_e64 v0, s[0:1], v20, v0
	v_mov_b32_e32 v4, v9
	v_addc_co_u32_e64 v1, s[0:1], v21, v1, s[0:1]
	v_mad_u64_u32 v[4:5], s[0:1], s21, v10, v[4:5]
	v_add_u32_e32 v22, 0x160, v30
	v_mad_u64_u32 v[10:11], s[0:1], s20, v22, 0
	v_lshlrev_b64 v[2:3], 3, v[2:3]
	v_mov_b32_e32 v9, v4
	v_add_co_u32_e64 v2, s[0:1], v20, v2
	v_lshlrev_b64 v[4:5], 3, v[8:9]
	v_mov_b32_e32 v8, v11
	v_addc_co_u32_e64 v3, s[0:1], v21, v3, s[0:1]
	v_mad_u64_u32 v[8:9], s[0:1], s21, v22, v[8:9]
	v_add_co_u32_e64 v4, s[0:1], v20, v4
	v_mov_b32_e32 v11, v8
	v_lshlrev_b64 v[8:9], 3, v[10:11]
	v_addc_co_u32_e64 v5, s[0:1], v21, v5, s[0:1]
	v_add_co_u32_e64 v8, s[0:1], v20, v8
	v_addc_co_u32_e64 v9, s[0:1], v21, v9, s[0:1]
	global_load_dwordx2 v[10:11], v[6:7], off
	global_load_dwordx2 v[20:21], v[0:1], off
	;; [unrolled: 1-line block ×5, first 2 shown]
	v_lshl_add_u32 v0, v30, 3, 0
	v_add_u32_e32 v1, 0x800, v0
	s_waitcnt vmcnt(7)
	ds_write2_b64 v0, v[12:13], v[14:15] offset1:44
	s_waitcnt vmcnt(5)
	ds_write2_b64 v0, v[16:17], v[18:19] offset0:88 offset1:132
	s_waitcnt vmcnt(3)
	ds_write2_b64 v0, v[10:11], v[20:21] offset0:176 offset1:220
	;; [unrolled: 2-line block ×3, first 2 shown]
	s_waitcnt vmcnt(0)
	ds_write_b64 v0, v[31:32] offset:2816
.LBB0_13:
	s_or_b64 exec, exec, s[6:7]
	v_lshl_add_u32 v31, v30, 3, 0
	v_add_u32_e32 v32, 0x800, v31
	s_waitcnt lgkmcnt(0)
	; wave barrier
	s_waitcnt lgkmcnt(0)
	ds_read2_b64 v[2:5], v31 offset1:36
	ds_read_b64 v[28:29], v31 offset:2880
	ds_read2_b64 v[12:15], v31 offset0:72 offset1:108
	ds_read2_b64 v[8:11], v32 offset0:32 offset1:68
	;; [unrolled: 1-line block ×4, first 2 shown]
	s_mov_b32 s8, 0x3f575c64
	s_waitcnt lgkmcnt(4)
	v_sub_f32_e32 v52, v5, v29
	v_mul_f32_e32 v38, 0xbf0a6770, v52
	s_waitcnt lgkmcnt(2)
	v_sub_f32_e32 v56, v13, v11
	v_add_f32_e32 v33, v28, v4
	v_mov_b32_e32 v0, v38
	v_mul_f32_e32 v39, 0xbf68dda4, v56
	v_fmac_f32_e32 v0, 0x3f575c64, v33
	v_add_f32_e32 v34, v10, v12
	v_mov_b32_e32 v1, v39
	v_sub_f32_e32 v54, v4, v28
	v_add_f32_e32 v0, v2, v0
	v_fmac_f32_e32 v1, 0x3ed4b147, v34
	v_add_f32_e32 v35, v29, v5
	v_mul_f32_e32 v45, 0xbf0a6770, v54
	v_sub_f32_e32 v55, v12, v10
	v_add_f32_e32 v0, v1, v0
	v_fma_f32 v1, v35, s8, -v45
	s_mov_b32 s9, 0x3ed4b147
	v_add_f32_e32 v37, v11, v13
	v_mul_f32_e32 v46, 0xbf68dda4, v55
	v_sub_f32_e32 v58, v15, v9
	v_add_f32_e32 v1, v3, v1
	v_fma_f32 v6, v37, s9, -v46
	v_mul_f32_e32 v43, 0xbf7d64f0, v58
	v_add_f32_e32 v1, v6, v1
	v_add_f32_e32 v36, v8, v14
	v_mov_b32_e32 v6, v43
	v_sub_f32_e32 v57, v14, v8
	v_fmac_f32_e32 v6, 0xbe11bafb, v36
	s_mov_b32 s14, 0xbe11bafb
	v_add_f32_e32 v40, v9, v15
	v_mul_f32_e32 v49, 0xbf7d64f0, v57
	s_waitcnt lgkmcnt(0)
	v_sub_f32_e32 v65, v21, v19
	v_add_f32_e32 v0, v6, v0
	v_fma_f32 v6, v40, s14, -v49
	v_mul_f32_e32 v48, 0xbf4178ce, v65
	v_add_f32_e32 v1, v6, v1
	v_add_f32_e32 v41, v18, v20
	v_mov_b32_e32 v6, v48
	v_sub_f32_e32 v62, v20, v18
	v_fmac_f32_e32 v6, 0xbf27a4f4, v41
	s_mov_b32 s15, 0xbf27a4f4
	v_add_f32_e32 v44, v19, v21
	v_mul_f32_e32 v51, 0xbf4178ce, v62
	v_sub_f32_e32 v71, v23, v17
	v_add_f32_e32 v0, v6, v0
	v_fma_f32 v6, v44, s15, -v51
	v_mul_f32_e32 v50, 0xbe903f40, v71
	v_add_f32_e32 v1, v6, v1
	v_add_f32_e32 v42, v16, v22
	v_mov_b32_e32 v6, v50
	v_sub_f32_e32 v68, v22, v16
	s_mov_b32 s16, 0xbf75a155
	v_fmac_f32_e32 v6, 0xbf75a155, v42
	v_add_f32_e32 v47, v17, v23
	v_mul_f32_e32 v53, 0xbe903f40, v68
	v_mul_f32_e32 v59, 0xbf68dda4, v52
	v_fma_f32 v7, v47, s16, -v53
	v_add_f32_e32 v0, v6, v0
	v_mov_b32_e32 v6, v59
	v_mul_f32_e32 v60, 0xbf4178ce, v56
	v_add_f32_e32 v1, v7, v1
	v_fmac_f32_e32 v6, 0x3ed4b147, v33
	v_mov_b32_e32 v7, v60
	v_add_f32_e32 v6, v2, v6
	v_fmac_f32_e32 v7, 0xbf27a4f4, v34
	v_mul_f32_e32 v66, 0xbf68dda4, v54
	v_add_f32_e32 v6, v7, v6
	v_fma_f32 v7, v35, s9, -v66
	v_mul_f32_e32 v67, 0xbf4178ce, v55
	v_add_f32_e32 v7, v3, v7
	v_fma_f32 v61, v37, s15, -v67
	v_add_f32_e32 v7, v61, v7
	v_mul_f32_e32 v61, 0x3e903f40, v58
	v_mov_b32_e32 v63, v61
	v_fmac_f32_e32 v63, 0xbf75a155, v36
	v_mul_f32_e32 v69, 0x3e903f40, v57
	v_add_f32_e32 v6, v63, v6
	v_fma_f32 v63, v40, s16, -v69
	v_add_f32_e32 v7, v63, v7
	v_mul_f32_e32 v63, 0x3f7d64f0, v65
	v_mov_b32_e32 v64, v63
	v_fmac_f32_e32 v64, 0xbe11bafb, v41
	v_mul_f32_e32 v70, 0x3f7d64f0, v62
	v_add_f32_e32 v6, v64, v6
	v_fma_f32 v64, v44, s14, -v70
	v_add_f32_e32 v7, v64, v7
	v_mul_f32_e32 v64, 0x3f0a6770, v71
	v_mov_b32_e32 v73, v64
	v_mul_f32_e32 v72, 0x3f0a6770, v68
	v_fmac_f32_e32 v73, 0x3f575c64, v42
	v_fma_f32 v74, v47, s8, -v72
	v_add_f32_e32 v6, v73, v6
	v_add_f32_e32 v7, v74, v7
	v_cmp_gt_u32_e64 s[0:1], 36, v30
	s_waitcnt lgkmcnt(0)
	; wave barrier
	s_and_saveexec_b64 s[6:7], s[0:1]
	s_cbranch_execz .LBB0_15
; %bb.14:
	v_mul_f32_e32 v81, 0xbe11bafb, v35
	v_mov_b32_e32 v73, v81
	v_mul_f32_e32 v82, 0xbf75a155, v37
	v_fmac_f32_e32 v73, 0x3f7d64f0, v54
	v_mov_b32_e32 v74, v82
	v_add_f32_e32 v73, v3, v73
	v_fmac_f32_e32 v74, 0xbe903f40, v55
	v_mul_f32_e32 v83, 0x3ed4b147, v40
	v_add_f32_e32 v73, v74, v73
	v_mov_b32_e32 v74, v83
	v_fmac_f32_e32 v74, 0xbf68dda4, v57
	v_mul_f32_e32 v84, 0x3f575c64, v44
	v_add_f32_e32 v73, v74, v73
	v_mov_b32_e32 v74, v84
	;; [unrolled: 4-line block ×3, first 2 shown]
	v_mul_f32_e32 v86, 0x3e903f40, v56
	v_fmac_f32_e32 v74, 0xbe11bafb, v33
	v_mov_b32_e32 v75, v86
	v_add_f32_e32 v74, v2, v74
	v_fmac_f32_e32 v75, 0xbf75a155, v34
	v_mul_f32_e32 v87, 0x3f68dda4, v58
	v_add_f32_e32 v74, v75, v74
	v_mov_b32_e32 v75, v87
	v_fmac_f32_e32 v75, 0x3ed4b147, v36
	v_mul_f32_e32 v88, 0xbf0a6770, v65
	v_add_f32_e32 v74, v75, v74
	v_mov_b32_e32 v75, v88
	;; [unrolled: 4-line block ×5, first 2 shown]
	v_mul_f32_e32 v78, 0x3f575c64, v37
	v_fmac_f32_e32 v75, 0x3e903f40, v54
	v_mov_b32_e32 v76, v78
	v_add_f32_e32 v75, v3, v75
	v_fmac_f32_e32 v76, 0xbf0a6770, v55
	v_mul_f32_e32 v79, 0xbf27a4f4, v40
	v_add_f32_e32 v75, v76, v75
	v_mov_b32_e32 v76, v79
	v_fmac_f32_e32 v76, 0x3f4178ce, v57
	v_mul_f32_e32 v80, 0x3ed4b147, v44
	v_add_f32_e32 v75, v76, v75
	v_mov_b32_e32 v76, v80
	;; [unrolled: 4-line block ×3, first 2 shown]
	v_mul_f32_e32 v92, 0x3f0a6770, v56
	v_fmac_f32_e32 v76, 0xbf75a155, v33
	v_mov_b32_e32 v93, v92
	v_add_f32_e32 v76, v2, v76
	v_fmac_f32_e32 v93, 0x3f575c64, v34
	v_add_f32_e32 v76, v93, v76
	v_mul_f32_e32 v93, 0xbf4178ce, v58
	v_mov_b32_e32 v94, v93
	v_fmac_f32_e32 v77, 0xbe903f40, v54
	v_fmac_f32_e32 v94, 0xbf27a4f4, v36
	v_add_f32_e32 v77, v3, v77
	v_fmac_f32_e32 v78, 0x3f0a6770, v55
	v_add_f32_e32 v76, v94, v76
	v_mul_f32_e32 v94, 0x3f68dda4, v65
	v_add_f32_e32 v77, v78, v77
	v_fmac_f32_e32 v79, 0xbf4178ce, v57
	v_fma_f32 v78, v33, s16, -v91
	v_mov_b32_e32 v95, v94
	v_add_f32_e32 v77, v79, v77
	v_add_f32_e32 v78, v2, v78
	v_fma_f32 v79, v34, s8, -v92
	v_fmac_f32_e32 v95, 0x3ed4b147, v41
	v_mul_f32_e32 v96, 0xbe11bafb, v47
	v_fmac_f32_e32 v80, 0x3f68dda4, v62
	v_add_f32_e32 v78, v79, v78
	v_fma_f32 v79, v36, s15, -v93
	v_add_f32_e32 v95, v95, v76
	v_mov_b32_e32 v76, v96
	v_mul_f32_e32 v97, 0xbf7d64f0, v71
	v_add_f32_e32 v77, v80, v77
	v_add_f32_e32 v78, v79, v78
	v_fma_f32 v79, v41, s9, -v94
	v_fmac_f32_e32 v96, 0xbf7d64f0, v68
	v_add_f32_e32 v79, v79, v78
	v_add_f32_e32 v78, v96, v77
	v_fma_f32 v77, v42, s14, -v97
	v_mul_f32_e32 v91, 0xbf4178ce, v54
	v_add_f32_e32 v77, v77, v79
	v_mov_b32_e32 v79, v91
	v_mul_f32_e32 v92, 0x3f7d64f0, v55
	v_fmac_f32_e32 v79, 0xbf27a4f4, v35
	v_mov_b32_e32 v80, v92
	v_add_f32_e32 v79, v3, v79
	v_fmac_f32_e32 v80, 0xbe11bafb, v37
	v_mul_f32_e32 v93, 0xbf0a6770, v57
	v_add_f32_e32 v79, v80, v79
	v_mov_b32_e32 v80, v93
	v_fmac_f32_e32 v76, 0x3f7d64f0, v68
	v_fmac_f32_e32 v80, 0x3f575c64, v40
	v_mul_f32_e32 v94, 0xbe903f40, v62
	v_add_f32_e32 v76, v76, v75
	v_mov_b32_e32 v75, v97
	v_add_f32_e32 v79, v80, v79
	v_mov_b32_e32 v80, v94
	v_fmac_f32_e32 v75, 0xbe11bafb, v42
	v_fmac_f32_e32 v80, 0xbf75a155, v44
	v_mul_f32_e32 v52, 0xbf4178ce, v52
	v_add_f32_e32 v75, v75, v95
	v_add_f32_e32 v79, v80, v79
	v_fma_f32 v80, v33, s15, -v52
	v_mul_f32_e32 v95, 0x3f7d64f0, v56
	v_add_f32_e32 v80, v2, v80
	v_fma_f32 v56, v34, s14, -v95
	v_mul_f32_e32 v58, 0xbf0a6770, v58
	;; [unrolled: 3-line block ×4, first 2 shown]
	v_add_f32_e32 v56, v80, v56
	v_mov_b32_e32 v80, v96
	v_fmac_f32_e32 v80, 0x3ed4b147, v47
	v_mul_f32_e32 v71, 0x3f68dda4, v71
	v_fmac_f32_e32 v81, 0xbf7d64f0, v54
	v_add_f32_e32 v80, v80, v79
	v_fma_f32 v79, v42, s9, -v71
	v_fmac_f32_e32 v82, 0x3e903f40, v55
	v_add_f32_e32 v54, v3, v81
	v_fma_f32 v55, v33, s14, -v85
	v_add_f32_e32 v79, v79, v56
	v_add_f32_e32 v54, v82, v54
	v_fmac_f32_e32 v83, 0x3f68dda4, v57
	v_add_f32_e32 v55, v2, v55
	v_fma_f32 v56, v34, s16, -v86
	v_add_f32_e32 v54, v83, v54
	v_fmac_f32_e32 v84, 0xbf0a6770, v62
	v_add_f32_e32 v55, v56, v55
	v_fma_f32 v56, v36, s9, -v87
	;; [unrolled: 4-line block ×3, first 2 shown]
	v_add_f32_e32 v56, v56, v55
	v_add_f32_e32 v55, v89, v54
	v_fma_f32 v54, v42, s15, -v90
	v_add_f32_e32 v54, v54, v56
	v_mul_f32_e32 v56, 0x3ed4b147, v35
	v_mul_f32_e32 v62, 0x3ed4b147, v33
	v_add_f32_e32 v56, v66, v56
	v_mul_f32_e32 v57, 0xbf27a4f4, v37
	v_sub_f32_e32 v59, v62, v59
	v_mul_f32_e32 v62, 0xbf27a4f4, v34
	v_add_f32_e32 v57, v67, v57
	v_add_f32_e32 v56, v3, v56
	v_sub_f32_e32 v60, v62, v60
	v_add_f32_e32 v59, v2, v59
	v_add_f32_e32 v56, v57, v56
	v_mul_f32_e32 v57, 0xbf75a155, v40
	v_add_f32_e32 v59, v60, v59
	v_mul_f32_e32 v60, 0xbf75a155, v36
	v_add_f32_e32 v57, v69, v57
	v_sub_f32_e32 v60, v60, v61
	v_add_f32_e32 v56, v57, v56
	v_mul_f32_e32 v57, 0xbe11bafb, v44
	v_add_f32_e32 v59, v60, v59
	v_mul_f32_e32 v60, 0xbe11bafb, v41
	v_add_f32_e32 v57, v70, v57
	v_sub_f32_e32 v60, v60, v63
	;; [unrolled: 6-line block ×3, first 2 shown]
	v_add_f32_e32 v4, v2, v4
	v_add_f32_e32 v57, v57, v56
	;; [unrolled: 1-line block ×3, first 2 shown]
	v_mul_f32_e32 v59, 0x3f575c64, v35
	v_add_f32_e32 v4, v4, v12
	v_add_f32_e32 v45, v45, v59
	v_mul_f32_e32 v59, 0x3ed4b147, v37
	v_add_f32_e32 v4, v4, v14
	v_add_f32_e32 v46, v46, v59
	v_add_f32_e32 v45, v3, v45
	v_add_f32_e32 v5, v3, v5
	v_add_f32_e32 v4, v4, v20
	v_add_f32_e32 v45, v46, v45
	v_mul_f32_e32 v46, 0xbe11bafb, v40
	v_add_f32_e32 v5, v5, v13
	v_add_f32_e32 v4, v4, v22
	;; [unrolled: 1-line block ×6, first 2 shown]
	v_mul_f32_e32 v46, 0xbf27a4f4, v44
	v_mul_f32_e32 v49, 0x3f575c64, v33
	v_add_f32_e32 v5, v5, v21
	v_add_f32_e32 v4, v4, v18
	;; [unrolled: 1-line block ×3, first 2 shown]
	v_mul_f32_e32 v51, 0x3ed4b147, v34
	v_sub_f32_e32 v38, v49, v38
	v_add_f32_e32 v5, v5, v23
	v_add_f32_e32 v4, v4, v8
	v_fma_f32 v8, v35, s15, -v91
	v_mul_f32_e32 v49, 0xbe11bafb, v36
	v_sub_f32_e32 v39, v51, v39
	v_add_f32_e32 v38, v2, v38
	v_add_f32_e32 v5, v5, v17
	v_add_f32_e32 v3, v3, v8
	v_fma_f32 v8, v37, s14, -v92
	v_fmac_f32_e32 v52, 0xbf27a4f4, v33
	v_add_f32_e32 v45, v46, v45
	v_mul_f32_e32 v46, 0xbf75a155, v47
	v_mul_f32_e32 v51, 0xbf27a4f4, v41
	v_add_f32_e32 v38, v39, v38
	v_sub_f32_e32 v43, v49, v43
	v_add_f32_e32 v5, v5, v19
	v_add_f32_e32 v3, v8, v3
	v_fma_f32 v8, v40, s8, -v93
	v_add_f32_e32 v2, v2, v52
	v_fmac_f32_e32 v95, 0xbe11bafb, v34
	v_add_f32_e32 v46, v53, v46
	v_mul_f32_e32 v53, 0xbf75a155, v42
	v_add_f32_e32 v38, v43, v38
	v_sub_f32_e32 v43, v51, v48
	v_add_f32_e32 v5, v5, v9
	v_add_f32_e32 v3, v8, v3
	v_fma_f32 v8, v44, s16, -v94
	v_add_f32_e32 v2, v95, v2
	v_fmac_f32_e32 v58, 0x3f575c64, v36
	v_add_f32_e32 v38, v43, v38
	v_sub_f32_e32 v43, v53, v50
	v_add_f32_e32 v5, v5, v11
	v_add_f32_e32 v4, v4, v10
	;; [unrolled: 1-line block ×3, first 2 shown]
	v_fma_f32 v8, v47, s9, -v96
	v_add_f32_e32 v2, v58, v2
	v_fmac_f32_e32 v65, 0xbf75a155, v41
	s_movk_i32 s0, 0x50
	v_add_f32_e32 v39, v46, v45
	v_add_f32_e32 v38, v43, v38
	;; [unrolled: 1-line block ×6, first 2 shown]
	v_fmac_f32_e32 v71, 0x3ed4b147, v42
	v_mad_u32_u24 v8, v30, s0, v31
	v_add_f32_e32 v2, v71, v2
	ds_write2_b64 v8, v[4:5], v[38:39] offset1:1
	ds_write2_b64 v8, v[56:57], v[54:55] offset0:2 offset1:3
	ds_write2_b64 v8, v[79:80], v[77:78] offset0:4 offset1:5
	;; [unrolled: 1-line block ×4, first 2 shown]
	ds_write_b64 v8, v[0:1] offset:80
.LBB0_15:
	s_or_b64 exec, exec, s[6:7]
	s_movk_i32 s0, 0x75
	v_mul_lo_u16_sdwa v2, v30, s0 dst_sel:DWORD dst_unused:UNUSED_PAD src0_sel:BYTE_0 src1_sel:DWORD
	v_sub_u16_sdwa v3, v30, v2 dst_sel:DWORD dst_unused:UNUSED_PAD src0_sel:DWORD src1_sel:BYTE_1
	v_lshrrev_b16_e32 v3, 1, v3
	v_and_b32_e32 v3, 0x7f, v3
	v_add_u16_sdwa v2, v3, v2 dst_sel:DWORD dst_unused:UNUSED_PAD src0_sel:DWORD src1_sel:BYTE_1
	v_lshrrev_b16_e32 v45, 3, v2
	v_mul_lo_u16_e32 v2, 11, v45
	v_sub_u16_e32 v46, v30, v2
	v_mov_b32_e32 v2, 6
	v_lshlrev_b32_sdwa v20, v2, v46 dst_sel:DWORD dst_unused:UNUSED_PAD src0_sel:DWORD src1_sel:BYTE_0
	s_load_dwordx2 s[4:5], s[4:5], 0x0
	s_waitcnt lgkmcnt(0)
	; wave barrier
	s_waitcnt lgkmcnt(0)
	global_load_dwordx4 v[2:5], v20, s[12:13]
	global_load_dwordx4 v[8:11], v20, s[12:13] offset:16
	global_load_dwordx4 v[12:15], v20, s[12:13] offset:32
	;; [unrolled: 1-line block ×3, first 2 shown]
	ds_read2_b64 v[20:23], v31 offset1:44
	ds_read2_b64 v[33:36], v31 offset0:88 offset1:132
	ds_read2_b64 v[37:40], v31 offset0:176 offset1:220
	ds_read2_b64 v[41:44], v32 offset0:8 offset1:52
	ds_read_b64 v[28:29], v31 offset:2816
	v_mov_b32_e32 v47, 3
	v_lshlrev_b32_sdwa v46, v47, v46 dst_sel:DWORD dst_unused:UNUSED_PAD src0_sel:DWORD src1_sel:BYTE_0
	s_waitcnt lgkmcnt(4)
	v_mov_b32_e32 v48, v20
	s_mov_b32 s0, 0xbf248dbb
	v_mov_b32_e32 v49, v21
	s_waitcnt lgkmcnt(0)
	; wave barrier
	s_waitcnt vmcnt(3) lgkmcnt(0)
	v_mul_f32_e32 v47, v3, v23
	v_mul_f32_e32 v3, v3, v22
	;; [unrolled: 1-line block ×3, first 2 shown]
	s_waitcnt vmcnt(2)
	v_mul_f32_e32 v52, v11, v38
	v_mul_f32_e32 v53, v11, v37
	s_waitcnt vmcnt(1)
	v_mul_f32_e32 v11, v13, v40
	s_waitcnt vmcnt(0)
	v_mul_f32_e32 v56, v29, v19
	v_mul_f32_e32 v19, v28, v19
	;; [unrolled: 1-line block ×9, first 2 shown]
	v_fma_f32 v22, v2, v22, -v47
	v_fmac_f32_e32 v3, v2, v23
	v_fma_f32 v2, v4, v33, -v50
	v_fma_f32 v33, v12, v39, -v11
	;; [unrolled: 1-line block ×3, first 2 shown]
	v_fmac_f32_e32 v19, v29, v18
	v_mul_f32_e32 v15, v41, v15
	v_fmac_f32_e32 v5, v4, v34
	v_fma_f32 v4, v8, v35, -v51
	v_fmac_f32_e32 v9, v8, v36
	v_fma_f32 v23, v10, v37, -v52
	;; [unrolled: 2-line block ×3, first 2 shown]
	v_fma_f32 v10, v43, v16, -v55
	v_fmac_f32_e32 v17, v44, v16
	v_add_f32_e32 v18, v22, v11
	v_add_f32_e32 v28, v3, v19
	v_sub_f32_e32 v16, v22, v11
	v_sub_f32_e32 v19, v3, v19
	v_fmac_f32_e32 v54, v12, v40
	v_fmac_f32_e32 v15, v42, v14
	v_add_f32_e32 v29, v2, v10
	v_add_f32_e32 v34, v5, v17
	;; [unrolled: 1-line block ×3, first 2 shown]
	v_sub_f32_e32 v22, v2, v10
	v_sub_f32_e32 v17, v5, v17
	;; [unrolled: 1-line block ×4, first 2 shown]
	v_mul_f32_e32 v5, 0x3f248dbb, v16
	v_mul_f32_e32 v4, 0x3f248dbb, v19
	v_fmac_f32_e32 v48, 0x3f441b7d, v18
	v_sub_f32_e32 v38, v9, v15
	v_sub_f32_e32 v40, v53, v54
	v_mul_f32_e32 v11, 0xbf248dbb, v39
	v_fmac_f32_e32 v5, 0x3f7c1c5c, v22
	v_fmac_f32_e32 v4, 0x3f7c1c5c, v17
	;; [unrolled: 1-line block ×3, first 2 shown]
	v_add_f32_e32 v41, v23, v33
	v_mul_f32_e32 v10, 0xbf248dbb, v40
	v_fmac_f32_e32 v11, 0x3f7c1c5c, v16
	v_fmac_f32_e32 v5, 0x3f5db3d7, v37
	;; [unrolled: 1-line block ×3, first 2 shown]
	v_fmac_f32_e32 v48, -0.5, v35
	v_fmac_f32_e32 v5, 0x3eaf1d44, v39
	v_fmac_f32_e32 v4, 0x3eaf1d44, v40
	;; [unrolled: 1-line block ×5, first 2 shown]
	v_add_f32_e32 v12, v39, v16
	v_mul_f32_e32 v39, 0x3f7c1c5c, v39
	v_add_f32_e32 v36, v9, v15
	v_add_f32_e32 v2, v4, v48
	v_fmac_f32_e32 v10, 0xbf5db3d7, v38
	v_fmac_f32_e32 v11, 0x3eaf1d44, v22
	v_add_f32_e32 v13, v40, v19
	v_sub_f32_e32 v14, v12, v22
	v_add_f32_e32 v48, v34, v28
	v_mul_f32_e32 v40, 0x3f7c1c5c, v40
	v_fma_f32 v22, v22, s0, -v39
	v_fmac_f32_e32 v10, 0x3eaf1d44, v17
	v_sub_f32_e32 v15, v13, v17
	v_add_f32_e32 v47, v29, v18
	v_fma_f32 v39, v17, s0, -v40
	v_fmac_f32_e32 v22, 0x3f5db3d7, v37
	v_add_f32_e32 v17, v36, v48
	v_fmac_f32_e32 v22, 0x3eaf1d44, v16
	v_add_f32_e32 v16, v35, v47
	v_add_f32_e32 v17, v53, v17
	v_fmac_f32_e32 v49, 0x3f441b7d, v28
	v_add_f32_e32 v16, v23, v16
	v_add_f32_e32 v17, v54, v17
	;; [unrolled: 1-line block ×3, first 2 shown]
	v_fmac_f32_e32 v49, 0x3e31d0d4, v34
	v_mov_b32_e32 v8, v20
	v_mov_b32_e32 v9, v21
	v_add_f32_e32 v13, v36, v21
	v_add_f32_e32 v16, v33, v16
	;; [unrolled: 1-line block ×3, first 2 shown]
	v_fmac_f32_e32 v21, 0x3f441b7d, v34
	v_fmac_f32_e32 v49, -0.5, v36
	v_fmac_f32_e32 v8, 0x3f441b7d, v41
	v_fmac_f32_e32 v9, 0x3f441b7d, v42
	v_add_f32_e32 v12, v35, v20
	v_add_f32_e32 v16, v20, v16
	v_fmac_f32_e32 v20, 0x3f441b7d, v29
	v_fmac_f32_e32 v21, 0x3e31d0d4, v42
	;; [unrolled: 1-line block ×6, first 2 shown]
	v_fmac_f32_e32 v21, -0.5, v36
	v_sub_f32_e32 v3, v49, v5
	v_fmac_f32_e32 v8, -0.5, v35
	v_fmac_f32_e32 v9, -0.5, v36
	v_add_f32_e32 v49, v41, v47
	v_add_f32_e32 v50, v42, v48
	v_fmac_f32_e32 v39, 0x3f5db3d7, v38
	v_fmac_f32_e32 v20, -0.5, v35
	v_fmac_f32_e32 v21, 0xbf708fb2, v28
	v_fmac_f32_e32 v8, 0xbf708fb2, v29
	;; [unrolled: 1-line block ×3, first 2 shown]
	v_fmac_f32_e32 v12, -0.5, v49
	v_fmac_f32_e32 v13, -0.5, v50
	v_fmac_f32_e32 v39, 0x3eaf1d44, v19
	v_fmac_f32_e32 v20, 0xbf708fb2, v18
	v_sub_f32_e32 v19, v21, v22
	v_add_f32_e32 v8, v10, v8
	v_sub_f32_e32 v9, v9, v11
	v_mul_f32_e32 v43, 0x3f5db3d7, v14
	v_mul_f32_e32 v44, 0x3f5db3d7, v15
	v_fmac_f32_e32 v12, 0x3f5db3d7, v15
	v_fmac_f32_e32 v13, 0xbf5db3d7, v14
	v_add_f32_e32 v18, v39, v20
	v_fma_f32 v21, 2.0, v22, v19
	v_mul_u32_u24_e32 v22, 0x318, v45
	v_fma_f32 v10, -2.0, v10, v8
	v_fma_f32 v11, 2.0, v11, v9
	v_fma_f32 v14, -2.0, v44, v12
	v_fma_f32 v15, 2.0, v43, v13
	v_fma_f32 v20, -2.0, v39, v18
	v_add3_u32 v22, 0, v22, v46
	v_fma_f32 v4, -2.0, v4, v2
	v_fma_f32 v5, 2.0, v5, v3
	ds_write2_b64 v22, v[16:17], v[2:3] offset1:11
	ds_write2_b64 v22, v[8:9], v[12:13] offset0:22 offset1:33
	ds_write2_b64 v22, v[18:19], v[20:21] offset0:44 offset1:55
	;; [unrolled: 1-line block ×3, first 2 shown]
	ds_write_b64 v22, v[4:5] offset:704
	s_waitcnt lgkmcnt(0)
	; wave barrier
	s_waitcnt lgkmcnt(0)
	ds_read2_b64 v[8:11], v31 offset1:44
	ds_read2_b64 v[12:15], v31 offset0:99 offset1:143
	ds_read2_b64 v[16:19], v31 offset0:198 offset1:242
	;; [unrolled: 1-line block ×3, first 2 shown]
	v_cmp_gt_u32_e64 s[0:1], 11, v30
	s_and_saveexec_b64 s[6:7], s[0:1]
	s_cbranch_execz .LBB0_17
; %bb.16:
	v_add_u32_e32 v0, 0x800, v31
	ds_read2_b64 v[4:7], v31 offset0:88 offset1:187
	ds_read2_b64 v[0:3], v0 offset0:30 offset1:129
.LBB0_17:
	s_or_b64 exec, exec, s[6:7]
	v_mul_u32_u24_e32 v28, 3, v30
	v_lshlrev_b32_e32 v28, 3, v28
	global_load_dwordx4 v[32:35], v28, s[12:13] offset:704
	global_load_dwordx2 v[40:41], v28, s[12:13] offset:720
	global_load_dwordx4 v[36:39], v28, s[12:13] offset:1760
	global_load_dwordx2 v[42:43], v28, s[12:13] offset:1776
	v_add_u32_e32 v28, 0x800, v31
	s_waitcnt lgkmcnt(0)
	; wave barrier
	s_waitcnt vmcnt(3) lgkmcnt(0)
	v_mul_f32_e32 v29, v33, v13
	v_mul_f32_e32 v33, v33, v12
	;; [unrolled: 1-line block ×4, first 2 shown]
	s_waitcnt vmcnt(2)
	v_mul_f32_e32 v45, v41, v21
	v_mul_f32_e32 v41, v41, v20
	s_waitcnt vmcnt(1)
	v_mul_f32_e32 v46, v37, v15
	v_mul_f32_e32 v37, v37, v14
	;; [unrolled: 1-line block ×4, first 2 shown]
	s_waitcnt vmcnt(0)
	v_mul_f32_e32 v48, v43, v23
	v_mul_f32_e32 v43, v43, v22
	v_fma_f32 v12, v32, v12, -v29
	v_fmac_f32_e32 v33, v32, v13
	v_fma_f32 v13, v34, v16, -v44
	v_fmac_f32_e32 v35, v34, v17
	;; [unrolled: 2-line block ×6, first 2 shown]
	v_sub_f32_e32 v18, v8, v13
	v_sub_f32_e32 v19, v9, v35
	;; [unrolled: 1-line block ×8, first 2 shown]
	v_fma_f32 v22, v8, 2.0, -v18
	v_fma_f32 v23, v9, 2.0, -v19
	;; [unrolled: 1-line block ×4, first 2 shown]
	v_sub_f32_e32 v8, v18, v16
	v_add_f32_e32 v9, v19, v13
	v_fma_f32 v32, v10, 2.0, -v20
	v_fma_f32 v33, v11, 2.0, -v21
	;; [unrolled: 1-line block ×4, first 2 shown]
	v_sub_f32_e32 v10, v20, v17
	v_add_f32_e32 v11, v21, v15
	v_sub_f32_e32 v12, v22, v12
	v_sub_f32_e32 v13, v23, v29
	v_fma_f32 v14, v18, 2.0, -v8
	v_fma_f32 v15, v19, 2.0, -v9
	v_sub_f32_e32 v16, v32, v16
	v_sub_f32_e32 v17, v33, v34
	v_fma_f32 v18, v20, 2.0, -v10
	v_fma_f32 v19, v21, 2.0, -v11
	;; [unrolled: 1-line block ×6, first 2 shown]
	ds_write2_b64 v31, v[14:15], v[18:19] offset0:99 offset1:143
	ds_write2_b64 v31, v[12:13], v[16:17] offset0:198 offset1:242
	ds_write2_b64 v31, v[20:21], v[22:23] offset1:44
	ds_write2_b64 v28, v[8:9], v[10:11] offset0:41 offset1:85
	s_and_saveexec_b64 s[6:7], s[0:1]
	s_cbranch_execz .LBB0_19
; %bb.18:
	v_add_u32_e32 v8, 0x58, v30
	v_add_u32_e32 v9, -11, v30
	v_cndmask_b32_e64 v8, v9, v8, s[0:1]
	v_mul_i32_i24_e32 v8, 3, v8
	v_mov_b32_e32 v9, 0
	v_lshlrev_b64 v[8:9], 3, v[8:9]
	v_mov_b32_e32 v10, s13
	v_add_co_u32_e64 v12, s[0:1], s12, v8
	v_addc_co_u32_e64 v13, s[0:1], v10, v9, s[0:1]
	global_load_dwordx4 v[8:11], v[12:13], off offset:704
	global_load_dwordx2 v[14:15], v[12:13], off offset:720
	s_waitcnt vmcnt(1)
	v_mul_f32_e32 v12, v0, v11
	v_mul_f32_e32 v13, v7, v9
	s_waitcnt vmcnt(0)
	v_mul_f32_e32 v16, v3, v15
	v_mul_f32_e32 v11, v1, v11
	;; [unrolled: 1-line block ×4, first 2 shown]
	v_fmac_f32_e32 v12, v1, v10
	v_fma_f32 v6, v6, v8, -v13
	v_fma_f32 v1, v2, v14, -v16
	;; [unrolled: 1-line block ×3, first 2 shown]
	v_fmac_f32_e32 v9, v7, v8
	v_fmac_f32_e32 v15, v3, v14
	v_sub_f32_e32 v2, v5, v12
	v_sub_f32_e32 v3, v6, v1
	;; [unrolled: 1-line block ×5, first 2 shown]
	v_fma_f32 v10, v5, 2.0, -v2
	v_fma_f32 v5, v9, 2.0, -v8
	;; [unrolled: 1-line block ×4, first 2 shown]
	v_add_f32_e32 v1, v2, v3
	v_sub_f32_e32 v5, v10, v5
	v_sub_f32_e32 v4, v8, v4
	v_fma_f32 v3, v2, 2.0, -v1
	v_fma_f32 v2, v7, 2.0, -v0
	v_fma_f32 v7, v10, 2.0, -v5
	v_fma_f32 v6, v8, 2.0, -v4
	ds_write2_b64 v31, v[6:7], v[2:3] offset0:88 offset1:187
	ds_write2_b64 v28, v[4:5], v[0:1] offset0:30 offset1:129
.LBB0_19:
	s_or_b64 exec, exec, s[6:7]
	s_waitcnt lgkmcnt(0)
	; wave barrier
	s_waitcnt lgkmcnt(0)
	s_and_saveexec_b64 s[0:1], vcc
	s_cbranch_execz .LBB0_21
; %bb.20:
	v_mul_lo_u32 v2, s5, v26
	v_mul_lo_u32 v3, s4, v27
	v_mad_u64_u32 v[6:7], s[0:1], s4, v26, 0
	v_mad_u64_u32 v[4:5], s[0:1], s2, v30, 0
	v_add3_u32 v7, v7, v3, v2
	v_lshlrev_b64 v[6:7], 3, v[6:7]
	v_mov_b32_e32 v8, s11
	v_add_co_u32_e32 v9, vcc, s10, v6
	v_addc_co_u32_e32 v8, vcc, v8, v7, vcc
	v_lshlrev_b64 v[6:7], 3, v[24:25]
	v_mov_b32_e32 v0, v5
	v_add_co_u32_e32 v11, vcc, v9, v6
	v_addc_co_u32_e32 v12, vcc, v8, v7, vcc
	v_add_u32_e32 v8, 44, v30
	v_mad_u64_u32 v[0:1], s[0:1], s3, v30, v[0:1]
	v_mad_u64_u32 v[6:7], s[0:1], s2, v8, 0
	v_lshl_add_u32 v10, v30, 3, 0
	v_mov_b32_e32 v5, v0
	ds_read2_b64 v[0:3], v10 offset1:44
	v_mad_u64_u32 v[7:8], s[0:1], s3, v8, v[7:8]
	v_add_u32_e32 v13, 0x58, v30
	v_lshlrev_b64 v[4:5], 3, v[4:5]
	v_mad_u64_u32 v[8:9], s[0:1], s2, v13, 0
	v_add_co_u32_e32 v4, vcc, v11, v4
	v_addc_co_u32_e32 v5, vcc, v12, v5, vcc
	s_waitcnt lgkmcnt(0)
	global_store_dwordx2 v[4:5], v[0:1], off
	v_mov_b32_e32 v4, v9
	v_mad_u64_u32 v[4:5], s[0:1], s3, v13, v[4:5]
	v_lshlrev_b64 v[0:1], 3, v[6:7]
	v_add_u32_e32 v13, 0xb0, v30
	v_mov_b32_e32 v9, v4
	v_lshlrev_b64 v[4:5], 3, v[8:9]
	v_add_u32_e32 v8, 0x84, v30
	v_mad_u64_u32 v[6:7], s[0:1], s2, v8, 0
	v_add_co_u32_e32 v0, vcc, v11, v0
	v_addc_co_u32_e32 v1, vcc, v12, v1, vcc
	global_store_dwordx2 v[0:1], v[2:3], off
	ds_read2_b64 v[0:3], v10 offset0:88 offset1:132
	v_mad_u64_u32 v[7:8], s[0:1], s3, v8, v[7:8]
	v_mad_u64_u32 v[8:9], s[0:1], s2, v13, 0
	v_add_co_u32_e32 v4, vcc, v11, v4
	v_addc_co_u32_e32 v5, vcc, v12, v5, vcc
	s_waitcnt lgkmcnt(0)
	global_store_dwordx2 v[4:5], v[0:1], off
	v_mov_b32_e32 v4, v9
	v_mad_u64_u32 v[4:5], s[0:1], s3, v13, v[4:5]
	v_lshlrev_b64 v[0:1], 3, v[6:7]
	v_add_u32_e32 v13, 0x108, v30
	v_mov_b32_e32 v9, v4
	v_lshlrev_b64 v[4:5], 3, v[8:9]
	v_add_u32_e32 v8, 0xdc, v30
	v_mad_u64_u32 v[6:7], s[0:1], s2, v8, 0
	v_add_co_u32_e32 v0, vcc, v11, v0
	v_addc_co_u32_e32 v1, vcc, v12, v1, vcc
	global_store_dwordx2 v[0:1], v[2:3], off
	ds_read2_b64 v[0:3], v10 offset0:176 offset1:220
	v_mad_u64_u32 v[7:8], s[0:1], s3, v8, v[7:8]
	v_mad_u64_u32 v[8:9], s[0:1], s2, v13, 0
	v_add_co_u32_e32 v4, vcc, v11, v4
	v_addc_co_u32_e32 v5, vcc, v12, v5, vcc
	s_waitcnt lgkmcnt(0)
	global_store_dwordx2 v[4:5], v[0:1], off
	v_mov_b32_e32 v4, v9
	v_mad_u64_u32 v[4:5], s[0:1], s3, v13, v[4:5]
	v_lshlrev_b64 v[0:1], 3, v[6:7]
	v_add_u32_e32 v13, 0x160, v30
	v_mov_b32_e32 v9, v4
	v_lshlrev_b64 v[4:5], 3, v[8:9]
	v_add_u32_e32 v8, 0x134, v30
	v_mad_u64_u32 v[6:7], s[0:1], s2, v8, 0
	v_add_co_u32_e32 v0, vcc, v11, v0
	v_addc_co_u32_e32 v1, vcc, v12, v1, vcc
	global_store_dwordx2 v[0:1], v[2:3], off
	v_add_u32_e32 v0, 0x800, v10
	ds_read2_b64 v[0:3], v0 offset0:8 offset1:52
	v_mad_u64_u32 v[7:8], s[0:1], s3, v8, v[7:8]
	v_mad_u64_u32 v[8:9], s[0:1], s2, v13, 0
	v_add_co_u32_e32 v4, vcc, v11, v4
	v_addc_co_u32_e32 v5, vcc, v12, v5, vcc
	s_waitcnt lgkmcnt(0)
	global_store_dwordx2 v[4:5], v[0:1], off
	v_mov_b32_e32 v4, v9
	v_lshlrev_b64 v[0:1], 3, v[6:7]
	v_mad_u64_u32 v[4:5], s[0:1], s3, v13, v[4:5]
	v_add_co_u32_e32 v0, vcc, v11, v0
	v_addc_co_u32_e32 v1, vcc, v12, v1, vcc
	global_store_dwordx2 v[0:1], v[2:3], off
	v_mov_b32_e32 v9, v4
	ds_read_b64 v[0:1], v10 offset:2816
	v_lshlrev_b64 v[2:3], 3, v[8:9]
	v_add_co_u32_e32 v2, vcc, v11, v2
	v_addc_co_u32_e32 v3, vcc, v12, v3, vcc
	s_waitcnt lgkmcnt(0)
	global_store_dwordx2 v[2:3], v[0:1], off
.LBB0_21:
	s_endpgm
	.section	.rodata,"a",@progbits
	.p2align	6, 0x0
	.amdhsa_kernel fft_rtc_fwd_len396_factors_11_9_4_wgs_44_tpt_44_sp_op_CI_CI_sbrr_dirReg
		.amdhsa_group_segment_fixed_size 0
		.amdhsa_private_segment_fixed_size 0
		.amdhsa_kernarg_size 104
		.amdhsa_user_sgpr_count 6
		.amdhsa_user_sgpr_private_segment_buffer 1
		.amdhsa_user_sgpr_dispatch_ptr 0
		.amdhsa_user_sgpr_queue_ptr 0
		.amdhsa_user_sgpr_kernarg_segment_ptr 1
		.amdhsa_user_sgpr_dispatch_id 0
		.amdhsa_user_sgpr_flat_scratch_init 0
		.amdhsa_user_sgpr_private_segment_size 0
		.amdhsa_uses_dynamic_stack 0
		.amdhsa_system_sgpr_private_segment_wavefront_offset 0
		.amdhsa_system_sgpr_workgroup_id_x 1
		.amdhsa_system_sgpr_workgroup_id_y 0
		.amdhsa_system_sgpr_workgroup_id_z 0
		.amdhsa_system_sgpr_workgroup_info 0
		.amdhsa_system_vgpr_workitem_id 0
		.amdhsa_next_free_vgpr 98
		.amdhsa_next_free_sgpr 32
		.amdhsa_reserve_vcc 1
		.amdhsa_reserve_flat_scratch 0
		.amdhsa_float_round_mode_32 0
		.amdhsa_float_round_mode_16_64 0
		.amdhsa_float_denorm_mode_32 3
		.amdhsa_float_denorm_mode_16_64 3
		.amdhsa_dx10_clamp 1
		.amdhsa_ieee_mode 1
		.amdhsa_fp16_overflow 0
		.amdhsa_exception_fp_ieee_invalid_op 0
		.amdhsa_exception_fp_denorm_src 0
		.amdhsa_exception_fp_ieee_div_zero 0
		.amdhsa_exception_fp_ieee_overflow 0
		.amdhsa_exception_fp_ieee_underflow 0
		.amdhsa_exception_fp_ieee_inexact 0
		.amdhsa_exception_int_div_zero 0
	.end_amdhsa_kernel
	.text
.Lfunc_end0:
	.size	fft_rtc_fwd_len396_factors_11_9_4_wgs_44_tpt_44_sp_op_CI_CI_sbrr_dirReg, .Lfunc_end0-fft_rtc_fwd_len396_factors_11_9_4_wgs_44_tpt_44_sp_op_CI_CI_sbrr_dirReg
                                        ; -- End function
	.section	.AMDGPU.csdata,"",@progbits
; Kernel info:
; codeLenInByte = 6564
; NumSgprs: 36
; NumVgprs: 98
; ScratchSize: 0
; MemoryBound: 0
; FloatMode: 240
; IeeeMode: 1
; LDSByteSize: 0 bytes/workgroup (compile time only)
; SGPRBlocks: 4
; VGPRBlocks: 24
; NumSGPRsForWavesPerEU: 36
; NumVGPRsForWavesPerEU: 98
; Occupancy: 2
; WaveLimiterHint : 1
; COMPUTE_PGM_RSRC2:SCRATCH_EN: 0
; COMPUTE_PGM_RSRC2:USER_SGPR: 6
; COMPUTE_PGM_RSRC2:TRAP_HANDLER: 0
; COMPUTE_PGM_RSRC2:TGID_X_EN: 1
; COMPUTE_PGM_RSRC2:TGID_Y_EN: 0
; COMPUTE_PGM_RSRC2:TGID_Z_EN: 0
; COMPUTE_PGM_RSRC2:TIDIG_COMP_CNT: 0
	.type	__hip_cuid_85d3c6633d225f5f,@object ; @__hip_cuid_85d3c6633d225f5f
	.section	.bss,"aw",@nobits
	.globl	__hip_cuid_85d3c6633d225f5f
__hip_cuid_85d3c6633d225f5f:
	.byte	0                               ; 0x0
	.size	__hip_cuid_85d3c6633d225f5f, 1

	.ident	"AMD clang version 19.0.0git (https://github.com/RadeonOpenCompute/llvm-project roc-6.4.0 25133 c7fe45cf4b819c5991fe208aaa96edf142730f1d)"
	.section	".note.GNU-stack","",@progbits
	.addrsig
	.addrsig_sym __hip_cuid_85d3c6633d225f5f
	.amdgpu_metadata
---
amdhsa.kernels:
  - .args:
      - .actual_access:  read_only
        .address_space:  global
        .offset:         0
        .size:           8
        .value_kind:     global_buffer
      - .offset:         8
        .size:           8
        .value_kind:     by_value
      - .actual_access:  read_only
        .address_space:  global
        .offset:         16
        .size:           8
        .value_kind:     global_buffer
      - .actual_access:  read_only
        .address_space:  global
        .offset:         24
        .size:           8
        .value_kind:     global_buffer
      - .actual_access:  read_only
        .address_space:  global
        .offset:         32
        .size:           8
        .value_kind:     global_buffer
      - .offset:         40
        .size:           8
        .value_kind:     by_value
      - .actual_access:  read_only
        .address_space:  global
        .offset:         48
        .size:           8
        .value_kind:     global_buffer
      - .actual_access:  read_only
        .address_space:  global
        .offset:         56
        .size:           8
        .value_kind:     global_buffer
      - .offset:         64
        .size:           4
        .value_kind:     by_value
      - .actual_access:  read_only
        .address_space:  global
        .offset:         72
        .size:           8
        .value_kind:     global_buffer
      - .actual_access:  read_only
        .address_space:  global
        .offset:         80
        .size:           8
        .value_kind:     global_buffer
      - .actual_access:  read_only
        .address_space:  global
        .offset:         88
        .size:           8
        .value_kind:     global_buffer
      - .actual_access:  write_only
        .address_space:  global
        .offset:         96
        .size:           8
        .value_kind:     global_buffer
    .group_segment_fixed_size: 0
    .kernarg_segment_align: 8
    .kernarg_segment_size: 104
    .language:       OpenCL C
    .language_version:
      - 2
      - 0
    .max_flat_workgroup_size: 44
    .name:           fft_rtc_fwd_len396_factors_11_9_4_wgs_44_tpt_44_sp_op_CI_CI_sbrr_dirReg
    .private_segment_fixed_size: 0
    .sgpr_count:     36
    .sgpr_spill_count: 0
    .symbol:         fft_rtc_fwd_len396_factors_11_9_4_wgs_44_tpt_44_sp_op_CI_CI_sbrr_dirReg.kd
    .uniform_work_group_size: 1
    .uses_dynamic_stack: false
    .vgpr_count:     98
    .vgpr_spill_count: 0
    .wavefront_size: 64
amdhsa.target:   amdgcn-amd-amdhsa--gfx906
amdhsa.version:
  - 1
  - 2
...

	.end_amdgpu_metadata
